;; amdgpu-corpus repo=ROCm/rocFFT kind=compiled arch=gfx906 opt=O3
	.text
	.amdgcn_target "amdgcn-amd-amdhsa--gfx906"
	.amdhsa_code_object_version 6
	.protected	fft_rtc_fwd_len64_factors_4_4_4_wgs_64_tpt_4_halfLds_dim2_sp_ip_CI_sbcc_twdbase8_2step_dirReg_intrinsicReadWrite ; -- Begin function fft_rtc_fwd_len64_factors_4_4_4_wgs_64_tpt_4_halfLds_dim2_sp_ip_CI_sbcc_twdbase8_2step_dirReg_intrinsicReadWrite
	.globl	fft_rtc_fwd_len64_factors_4_4_4_wgs_64_tpt_4_halfLds_dim2_sp_ip_CI_sbcc_twdbase8_2step_dirReg_intrinsicReadWrite
	.p2align	8
	.type	fft_rtc_fwd_len64_factors_4_4_4_wgs_64_tpt_4_halfLds_dim2_sp_ip_CI_sbcc_twdbase8_2step_dirReg_intrinsicReadWrite,@function
fft_rtc_fwd_len64_factors_4_4_4_wgs_64_tpt_4_halfLds_dim2_sp_ip_CI_sbcc_twdbase8_2step_dirReg_intrinsicReadWrite: ; @fft_rtc_fwd_len64_factors_4_4_4_wgs_64_tpt_4_halfLds_dim2_sp_ip_CI_sbcc_twdbase8_2step_dirReg_intrinsicReadWrite
; %bb.0:
	s_load_dwordx4 s[0:3], s[4:5], 0x10
	s_mov_b32 s7, 0
	s_mov_b64 s[16:17], 0
	s_waitcnt lgkmcnt(0)
	s_load_dwordx2 s[10:11], s[0:1], 0x8
	s_load_dwordx2 s[12:13], s[4:5], 0x0
	;; [unrolled: 1-line block ×4, first 2 shown]
	s_waitcnt lgkmcnt(0)
	s_add_u32 s0, s10, -1
	s_addc_u32 s1, s11, -1
	s_lshr_b64 s[0:1], s[0:1], 4
	s_add_u32 s0, s0, 1
	s_addc_u32 s1, s1, 0
	v_mov_b32_e32 v2, s1
	v_mov_b32_e32 v1, s0
	v_cmp_lt_u64_e32 vcc, s[6:7], v[1:2]
	s_cbranch_vccnz .LBB0_2
; %bb.1:
	v_cvt_f32_u32_e32 v1, s0
	s_sub_i32 s7, 0, s0
	v_rcp_iflag_f32_e32 v1, v1
	v_mul_f32_e32 v1, 0x4f7ffffe, v1
	v_cvt_u32_f32_e32 v1, v1
	v_readfirstlane_b32 s15, v1
	s_mul_i32 s7, s7, s15
	s_mul_hi_u32 s7, s15, s7
	s_add_i32 s15, s15, s7
	s_mul_hi_u32 s7, s6, s15
	s_mul_i32 s16, s7, s0
	s_sub_i32 s16, s6, s16
	s_add_i32 s15, s7, 1
	s_sub_i32 s17, s16, s0
	s_cmp_ge_u32 s16, s0
	s_cselect_b32 s7, s15, s7
	s_cselect_b32 s16, s17, s16
	s_add_i32 s15, s7, 1
	s_cmp_ge_u32 s16, s0
	s_cselect_b32 s16, s15, s7
.LBB0_2:
	s_mul_i32 s1, s16, s1
	s_mul_hi_u32 s7, s16, s0
	s_load_dwordx4 s[20:23], s[2:3], 0x8
	s_add_i32 s7, s7, s1
	s_mul_i32 s0, s16, s0
	s_sub_u32 s0, s6, s0
	s_subb_u32 s1, 0, s7
	s_lshl_b64 s[0:1], s[0:1], 4
	s_waitcnt lgkmcnt(0)
	s_mul_i32 s2, s0, s20
	s_mul_i32 s3, s22, s16
	s_add_i32 s3, s3, s2
	v_and_b32_e32 v37, 15, v0
	v_or_b32_e32 v1, s0, v37
	s_add_u32 s0, s0, 16
	v_lshrrev_b32_e32 v36, 4, v0
	v_mov_b32_e32 v3, s10
	v_mov_b32_e32 v2, s1
	s_addc_u32 s1, s1, 0
	v_mul_lo_u32 v20, s20, v37
	v_mul_lo_u32 v0, s14, v36
	v_mov_b32_e32 v4, s11
	v_or_b32_e32 v13, 16, v36
	v_cmp_le_u64_e32 vcc, s[0:1], v[3:4]
	v_cmp_gt_u64_e64 s[0:1], s[10:11], v[1:2]
	v_mul_lo_u32 v2, s14, v13
	v_add_lshl_u32 v0, v20, v0, 3
	s_or_b64 vcc, vcc, s[0:1]
	v_or_b32_e32 v12, 32, v36
	v_cndmask_b32_e32 v21, -1, v0, vcc
	v_add_lshl_u32 v0, v20, v2, 3
	v_mul_lo_u32 v2, s14, v12
	v_or_b32_e32 v11, 48, v36
	v_mul_lo_u32 v3, s14, v11
	v_cndmask_b32_e32 v28, -1, v0, vcc
	v_add_lshl_u32 v0, v20, v2, 3
	v_cndmask_b32_e32 v22, -1, v0, vcc
	v_add_lshl_u32 v0, v20, v3, 3
	v_or_b32_e32 v10, 4, v36
	v_cndmask_b32_e32 v25, -1, v0, vcc
	v_mul_lo_u32 v0, s14, v10
	v_or_b32_e32 v7, 20, v36
	v_mul_lo_u32 v6, s14, v7
	v_or_b32_e32 v9, 52, v36
	v_add_lshl_u32 v0, v20, v0, 3
	v_cndmask_b32_e32 v23, -1, v0, vcc
	v_add_lshl_u32 v0, v20, v6, 3
	v_or_b32_e32 v6, 36, v36
	v_mul_lo_u32 v8, s14, v6
	v_mul_lo_u32 v14, s14, v9
	v_cndmask_b32_e32 v29, -1, v0, vcc
	v_or_b32_e32 v35, 24, v36
	v_add_lshl_u32 v0, v20, v8, 3
	v_cndmask_b32_e32 v27, -1, v0, vcc
	v_add_lshl_u32 v0, v20, v14, 3
	v_or_b32_e32 v8, 8, v36
	v_cndmask_b32_e32 v26, -1, v0, vcc
	v_mul_lo_u32 v0, s14, v8
	v_mul_lo_u32 v14, s14, v35
	v_or_b32_e32 v15, 56, v36
	v_mul_lo_u32 v17, s14, v15
	v_add_lshl_u32 v0, v20, v0, 3
	v_cndmask_b32_e32 v24, -1, v0, vcc
	v_add_lshl_u32 v0, v20, v14, 3
	v_or_b32_e32 v14, 40, v36
	v_mul_lo_u32 v16, s14, v14
	v_or_b32_e32 v34, 12, v36
	v_cndmask_b32_e32 v30, -1, v0, vcc
	v_or_b32_e32 v33, 28, v36
	v_add_lshl_u32 v0, v20, v16, 3
	v_add_lshl_u32 v16, v20, v17, 3
	v_mul_lo_u32 v17, s14, v34
	v_mul_lo_u32 v18, s14, v33
	v_or_b32_e32 v32, 44, v36
	s_lshl_b32 s2, s3, 3
	s_mov_b32 s11, 0x20000
	s_mov_b32 s10, -2
	v_mul_lo_u32 v31, s14, v32
	buffer_load_dwordx2 v[2:3], v21, s[8:11], s2 offen
	buffer_load_dwordx2 v[4:5], v28, s[8:11], s2 offen
	;; [unrolled: 1-line block ×4, first 2 shown]
	v_add_lshl_u32 v17, v20, v17, 3
	v_cndmask_b32_e32 v19, -1, v17, vcc
	v_add_lshl_u32 v17, v20, v18, 3
	v_cndmask_b32_e32 v18, -1, v17, vcc
	v_add_lshl_u32 v17, v20, v31, 3
	v_or_b32_e32 v31, 60, v36
	buffer_load_dwordx2 v[42:43], v23, s[8:11], s2 offen
	buffer_load_dwordx2 v[44:45], v29, s[8:11], s2 offen
	;; [unrolled: 1-line block ×4, first 2 shown]
	v_mul_lo_u32 v46, s14, v31
	v_cndmask_b32_e32 v16, -1, v16, vcc
	v_cndmask_b32_e32 v0, -1, v0, vcc
	buffer_load_dwordx2 v[53:54], v24, s[8:11], s2 offen
	buffer_load_dwordx2 v[55:56], v30, s[8:11], s2 offen
	;; [unrolled: 1-line block ×4, first 2 shown]
	v_add_lshl_u32 v20, v20, v46, 3
	v_cndmask_b32_e32 v17, -1, v17, vcc
	v_cndmask_b32_e32 v20, -1, v20, vcc
	buffer_load_dwordx2 v[61:62], v17, s[8:11], s2 offen
	buffer_load_dwordx2 v[63:64], v19, s[8:11], s2 offen
	;; [unrolled: 1-line block ×4, first 2 shown]
	s_movk_i32 s0, 0xff40
	v_mul_lo_u32 v6, v1, v6
	v_mul_lo_u32 v9, v1, v9
	;; [unrolled: 1-line block ×5, first 2 shown]
	s_waitcnt vmcnt(13)
	v_sub_f32_e32 v38, v2, v38
	v_sub_f32_e32 v39, v3, v39
	s_waitcnt vmcnt(12)
	v_sub_f32_e32 v49, v4, v40
	v_sub_f32_e32 v41, v5, v41
	v_fma_f32 v2, v2, 2.0, -v38
	v_fma_f32 v46, v3, 2.0, -v39
	;; [unrolled: 1-line block ×4, first 2 shown]
	v_sub_f32_e32 v69, v2, v3
	v_sub_f32_e32 v3, v46, v4
	v_fma_f32 v70, v2, 2.0, -v69
	v_fma_f32 v40, v46, 2.0, -v3
	v_sub_f32_e32 v71, v38, v41
	v_add_f32_e32 v46, v39, v49
	s_waitcnt vmcnt(9)
	v_sub_f32_e32 v2, v42, v47
	v_sub_f32_e32 v5, v43, v48
	v_fma_f32 v72, v38, 2.0, -v71
	v_fma_f32 v50, v39, 2.0, -v46
	;; [unrolled: 1-line block ×4, first 2 shown]
	s_waitcnt vmcnt(8)
	v_sub_f32_e32 v42, v44, v51
	v_sub_f32_e32 v43, v45, v52
	v_fma_f32 v4, v44, 2.0, -v42
	v_fma_f32 v41, v45, 2.0, -v43
	v_sub_f32_e32 v73, v38, v4
	v_sub_f32_e32 v4, v39, v41
	v_fma_f32 v41, v39, 2.0, -v4
	v_sub_f32_e32 v39, v2, v43
	v_add_f32_e32 v47, v5, v42
	v_fma_f32 v42, v2, 2.0, -v39
	s_waitcnt vmcnt(5)
	v_sub_f32_e32 v2, v53, v57
	s_waitcnt vmcnt(4)
	v_sub_f32_e32 v45, v55, v59
	v_sub_f32_e32 v48, v56, v60
	v_fma_f32 v74, v38, 2.0, -v73
	v_fma_f32 v51, v5, 2.0, -v47
	v_sub_f32_e32 v38, v54, v58
	v_fma_f32 v5, v55, 2.0, -v45
	v_sub_f32_e32 v55, v2, v48
	v_fma_f32 v43, v53, 2.0, -v2
	v_fma_f32 v44, v54, 2.0, -v38
	;; [unrolled: 1-line block ×3, first 2 shown]
	v_add_f32_e32 v48, v38, v45
	v_fma_f32 v56, v2, 2.0, -v55
	s_waitcnt vmcnt(2)
	v_sub_f32_e32 v2, v63, v61
	v_sub_f32_e32 v53, v64, v62
	s_waitcnt vmcnt(0)
	v_sub_f32_e32 v57, v65, v67
	v_sub_f32_e32 v58, v66, v68
	;; [unrolled: 1-line block ×4, first 2 shown]
	v_fma_f32 v52, v38, 2.0, -v48
	v_fma_f32 v45, v63, 2.0, -v2
	;; [unrolled: 1-line block ×5, first 2 shown]
	v_sub_f32_e32 v60, v45, v38
	v_sub_f32_e32 v38, v49, v59
	;; [unrolled: 1-line block ×3, first 2 shown]
	v_fma_f32 v59, v45, 2.0, -v60
	v_fma_f32 v45, v49, 2.0, -v38
	v_add_f32_e32 v49, v53, v57
	v_fma_f32 v57, v2, 2.0, -v58
	v_lshlrev_b32_e32 v2, 2, v37
	v_lshlrev_b32_e32 v37, 8, v10
	;; [unrolled: 1-line block ×3, first 2 shown]
	v_add3_u32 v67, 0, v37, v2
	v_lshlrev_b32_e32 v37, 8, v8
	v_add3_u32 v66, 0, v61, v2
	v_add3_u32 v68, 0, v37, v2
	v_lshlrev_b32_e32 v37, 8, v34
	v_fma_f32 v43, v43, 2.0, -v54
	ds_write2_b32 v66, v70, v72 offset1:16
	ds_write2_b32 v66, v69, v71 offset0:32 offset1:48
	ds_write2_b32 v67, v74, v42 offset1:16
	ds_write2_b32 v67, v73, v39 offset0:32 offset1:48
	v_add3_u32 v69, 0, v37, v2
	v_mad_i32_i24 v42, v36, s0, v66
	v_mad_i32_i24 v39, v8, s0, v68
	v_fma_f32 v44, v44, 2.0, -v5
	v_fma_f32 v53, v53, 2.0, -v49
	ds_write2_b32 v68, v43, v56 offset1:16
	ds_write2_b32 v68, v54, v55 offset0:32 offset1:48
	ds_write2_b32 v69, v59, v57 offset1:16
	ds_write2_b32 v69, v60, v58 offset0:32 offset1:48
	s_waitcnt lgkmcnt(0)
	; wave barrier
	s_waitcnt lgkmcnt(0)
	ds_read2st64_b32 v[54:55], v42 offset1:4
	v_mad_i32_i24 v37, v10, s0, v67
	ds_read2st64_b32 v[56:57], v42 offset0:11 offset1:12
	ds_read2st64_b32 v[58:59], v42 offset0:9 offset1:10
	;; [unrolled: 1-line block ×5, first 2 shown]
	v_mad_i32_i24 v43, v34, s0, v69
	ds_read_b32 v72, v39
	ds_read_b32 v73, v43
	;; [unrolled: 1-line block ×3, first 2 shown]
	ds_read_b32 v75, v42 offset:3840
	s_waitcnt lgkmcnt(0)
	; wave barrier
	s_waitcnt lgkmcnt(0)
	ds_write2_b32 v66, v40, v50 offset1:16
	ds_write2_b32 v66, v3, v46 offset0:32 offset1:48
	ds_write2_b32 v67, v41, v51 offset1:16
	ds_write2_b32 v67, v4, v47 offset0:32 offset1:48
	;; [unrolled: 2-line block ×4, first 2 shown]
	v_mul_u32_u24_e32 v3, 3, v36
	v_lshlrev_b32_e32 v40, 3, v3
	s_waitcnt lgkmcnt(0)
	; wave barrier
	s_waitcnt lgkmcnt(0)
	global_load_dwordx4 v[44:47], v40, s[12:13]
	global_load_dwordx2 v[3:4], v40, s[12:13] offset:16
	ds_read2st64_b32 v[48:49], v42 offset1:4
	ds_read2st64_b32 v[50:51], v42 offset0:11 offset1:12
	ds_read2st64_b32 v[52:53], v42 offset0:9 offset1:10
	;; [unrolled: 1-line block ×5, first 2 shown]
	v_lshlrev_b32_e32 v5, 6, v36
	s_load_dwordx2 s[0:1], s[4:5], 0x8
	s_waitcnt vmcnt(1)
	v_mul_f32_e32 v41, v55, v45
	s_waitcnt lgkmcnt(0)
	v_mul_f32_e32 v38, v49, v45
	v_fmac_f32_e32 v41, v49, v44
	v_mul_f32_e32 v49, v68, v45
	v_fma_f32 v38, v55, v44, -v38
	v_fma_f32 v49, v62, v44, -v49
	v_mul_f32_e32 v55, v62, v45
	v_mul_f32_e32 v62, v69, v45
	v_fma_f32 v62, v63, v44, -v62
	v_mul_f32_e32 v63, v63, v45
	v_fmac_f32_e32 v63, v69, v44
	v_mul_f32_e32 v69, v53, v47
	v_fmac_f32_e32 v55, v68, v44
	v_mul_f32_e32 v68, v52, v47
	v_fma_f32 v69, v59, v46, -v69
	v_mul_f32_e32 v59, v59, v47
	v_fma_f32 v68, v58, v46, -v68
	v_mul_f32_e32 v58, v58, v47
	v_fmac_f32_e32 v59, v53, v46
	v_mul_f32_e32 v53, v66, v45
	v_mul_f32_e32 v45, v60, v45
	;; [unrolled: 1-line block ×3, first 2 shown]
	v_fmac_f32_e32 v58, v52, v46
	v_mul_f32_e32 v52, v61, v47
	v_fma_f32 v53, v60, v44, -v53
	v_fmac_f32_e32 v45, v66, v44
	v_mul_f32_e32 v44, v50, v47
	v_mul_f32_e32 v47, v56, v47
	v_fma_f32 v76, v61, v46, -v76
	v_fmac_f32_e32 v52, v67, v46
	v_fma_f32 v44, v56, v46, -v44
	v_fmac_f32_e32 v47, v50, v46
	ds_read_b32 v46, v39
	ds_read_b32 v50, v43
	;; [unrolled: 1-line block ×3, first 2 shown]
	ds_read_b32 v60, v42 offset:3840
	s_waitcnt vmcnt(0)
	v_mul_f32_e32 v61, v51, v4
	v_fma_f32 v61, v57, v3, -v61
	v_mul_f32_e32 v57, v57, v4
	v_fmac_f32_e32 v57, v51, v3
	v_mul_f32_e32 v51, v70, v4
	v_mul_f32_e32 v66, v71, v4
	v_fma_f32 v51, v64, v3, -v51
	v_mul_f32_e32 v64, v64, v4
	v_fma_f32 v66, v65, v3, -v66
	v_mul_f32_e32 v65, v65, v4
	s_waitcnt lgkmcnt(0)
	v_mul_f32_e32 v67, v60, v4
	v_mul_f32_e32 v4, v75, v4
	v_fmac_f32_e32 v64, v70, v3
	v_fmac_f32_e32 v65, v71, v3
	v_fma_f32 v67, v75, v3, -v67
	v_fmac_f32_e32 v4, v60, v3
	v_sub_f32_e32 v3, v54, v76
	v_sub_f32_e32 v60, v38, v61
	v_fma_f32 v54, v54, 2.0, -v3
	v_sub_f32_e32 v57, v41, v57
	v_fma_f32 v38, v38, 2.0, -v60
	v_sub_f32_e32 v58, v56, v58
	v_sub_f32_e32 v51, v49, v51
	;; [unrolled: 1-line block ×5, first 2 shown]
	v_fma_f32 v41, v41, 2.0, -v57
	v_sub_f32_e32 v38, v54, v38
	v_sub_f32_e32 v57, v3, v57
	v_fma_f32 v49, v49, 2.0, -v51
	v_add_f32_e32 v51, v58, v51
	v_fma_f32 v46, v46, 2.0, -v59
	v_fma_f32 v63, v63, 2.0, -v65
	v_fma_f32 v54, v54, 2.0, -v38
	v_add_f32_e32 v61, v52, v60
	v_fma_f32 v3, v3, 2.0, -v57
	v_sub_f32_e32 v60, v74, v68
	v_fma_f32 v56, v56, 2.0, -v58
	v_fma_f32 v71, v58, 2.0, -v51
	v_sub_f32_e32 v58, v72, v69
	v_sub_f32_e32 v66, v62, v66
	v_sub_f32_e32 v63, v46, v63
	v_add3_u32 v76, 0, v5, v2
	v_fma_f32 v68, v74, 2.0, -v60
	v_sub_f32_e32 v64, v55, v64
	v_fma_f32 v69, v72, 2.0, -v58
	v_fma_f32 v62, v62, 2.0, -v66
	;; [unrolled: 1-line block ×3, first 2 shown]
	v_sub_f32_e32 v46, v58, v65
	v_add_f32_e32 v65, v59, v66
	v_sub_f32_e32 v44, v73, v44
	v_sub_f32_e32 v67, v53, v67
	s_waitcnt lgkmcnt(0)
	; wave barrier
	ds_write2st64_b32 v76, v54, v3 offset1:1
	ds_write2st64_b32 v76, v38, v57 offset0:2 offset1:3
	v_lshlrev_b32_e32 v3, 6, v13
	v_fma_f32 v48, v48, 2.0, -v52
	v_fma_f32 v55, v55, 2.0, -v64
	v_sub_f32_e32 v49, v68, v49
	v_sub_f32_e32 v64, v60, v64
	;; [unrolled: 1-line block ×3, first 2 shown]
	v_fma_f32 v66, v59, 2.0, -v65
	v_sub_f32_e32 v47, v50, v47
	v_fma_f32 v59, v73, 2.0, -v44
	v_sub_f32_e32 v4, v45, v4
	v_fma_f32 v53, v53, 2.0, -v67
	v_add3_u32 v54, 0, v3, v2
	v_lshlrev_b32_e32 v3, 6, v12
	v_sub_f32_e32 v41, v48, v41
	v_fma_f32 v68, v68, 2.0, -v49
	v_fma_f32 v60, v60, 2.0, -v64
	;; [unrolled: 1-line block ×6, first 2 shown]
	v_sub_f32_e32 v53, v59, v53
	v_sub_f32_e32 v4, v44, v4
	v_add3_u32 v57, 0, v3, v2
	v_lshlrev_b32_e32 v3, 6, v11
	v_fma_f32 v48, v48, 2.0, -v41
	v_fma_f32 v52, v52, 2.0, -v61
	v_sub_f32_e32 v55, v56, v55
	v_sub_f32_e32 v73, v50, v45
	v_fma_f32 v45, v59, 2.0, -v53
	v_add_f32_e32 v67, v47, v67
	v_fma_f32 v44, v44, 2.0, -v4
	ds_write2st64_b32 v54, v68, v60 offset1:1
	ds_write2st64_b32 v54, v49, v64 offset0:2 offset1:3
	ds_write2st64_b32 v57, v69, v58 offset1:1
	ds_write2st64_b32 v57, v62, v46 offset0:2 offset1:3
	v_add3_u32 v62, 0, v3, v2
	v_fma_f32 v56, v56, 2.0, -v55
	v_fma_f32 v74, v50, 2.0, -v73
	;; [unrolled: 1-line block ×3, first 2 shown]
	ds_write2st64_b32 v62, v45, v44 offset1:1
	ds_write2st64_b32 v62, v53, v4 offset0:2 offset1:3
	s_waitcnt lgkmcnt(0)
	; wave barrier
	s_waitcnt lgkmcnt(0)
	ds_read2st64_b32 v[2:3], v42 offset1:4
	ds_read2st64_b32 v[4:5], v42 offset0:11 offset1:12
	ds_read2st64_b32 v[44:45], v42 offset0:9 offset1:10
	;; [unrolled: 1-line block ×5, first 2 shown]
	ds_read_b32 v46, v39
	ds_read_b32 v38, v43
	;; [unrolled: 1-line block ×3, first 2 shown]
	ds_read_b32 v60, v42 offset:3840
	s_waitcnt lgkmcnt(0)
	; wave barrier
	s_waitcnt lgkmcnt(0)
	ds_write2st64_b32 v76, v48, v52 offset1:1
	ds_write2st64_b32 v76, v41, v61 offset0:2 offset1:3
	ds_write2st64_b32 v54, v56, v71 offset1:1
	ds_write2st64_b32 v54, v55, v51 offset0:2 offset1:3
	;; [unrolled: 2-line block ×4, first 2 shown]
	v_mul_u32_u24_e32 v41, 3, v10
	v_lshlrev_b32_e32 v41, 3, v41
	s_waitcnt lgkmcnt(0)
	; wave barrier
	s_waitcnt lgkmcnt(0)
	global_load_dwordx4 v[53:56], v41, s[12:13] offset:96
	v_mul_u32_u24_e32 v48, 3, v8
	v_lshlrev_b32_e32 v48, 3, v48
	global_load_dwordx4 v[61:64], v48, s[12:13] offset:96
	global_load_dwordx4 v[65:68], v40, s[12:13] offset:96
	global_load_dwordx2 v[71:72], v41, s[12:13] offset:112
	global_load_dwordx2 v[73:74], v48, s[12:13] offset:112
	ds_read2st64_b32 v[75:76], v42 offset0:9 offset1:10
	ds_read2st64_b32 v[51:52], v42 offset0:5 offset1:6
	ds_read2st64_b32 v[79:80], v42 offset1:4
	global_load_dwordx2 v[77:78], v40, s[12:13] offset:112
	v_mul_lo_u32 v13, v1, v13
	v_mul_lo_u32 v11, v1, v11
	s_waitcnt vmcnt(5) lgkmcnt(1)
	v_mul_f32_e32 v41, v51, v54
	v_fma_f32 v48, v49, v53, -v41
	v_mul_f32_e32 v49, v49, v54
	v_mul_f32_e32 v41, v75, v56
	;; [unrolled: 1-line block ×3, first 2 shown]
	v_fmac_f32_e32 v49, v51, v53
	v_fma_f32 v53, v44, v55, -v41
	v_fmac_f32_e32 v54, v75, v55
	ds_read2st64_b32 v[55:56], v42 offset0:7 offset1:8
	s_waitcnt vmcnt(4)
	v_mul_f32_e32 v40, v52, v62
	v_fma_f32 v40, v50, v61, -v40
	v_mul_f32_e32 v41, v50, v62
	ds_read2st64_b32 v[81:82], v42 offset0:13 offset1:14
	ds_read_b32 v50, v39
	ds_read_b32 v39, v43
	v_fmac_f32_e32 v41, v52, v61
	v_mul_f32_e32 v52, v45, v64
	s_waitcnt vmcnt(3) lgkmcnt(4)
	v_mul_f32_e32 v43, v80, v66
	v_mul_f32_e32 v44, v76, v64
	v_fmac_f32_e32 v52, v76, v63
	v_fma_f32 v76, v3, v65, -v43
	v_mul_f32_e32 v83, v3, v66
	s_waitcnt lgkmcnt(3)
	v_mul_f32_e32 v3, v56, v68
	v_fmac_f32_e32 v83, v80, v65
	v_fma_f32 v80, v70, v67, -v3
	s_waitcnt vmcnt(2) lgkmcnt(2)
	v_mul_f32_e32 v3, v81, v72
	v_fma_f32 v57, v58, v71, -v3
	s_waitcnt vmcnt(1)
	v_mul_f32_e32 v3, v82, v74
	v_fma_f32 v51, v45, v63, -v44
	v_fma_f32 v44, v59, v73, -v3
	v_mul_u32_u24_e32 v3, 3, v34
	v_lshlrev_b32_e32 v3, 3, v3
	global_load_dwordx4 v[61:64], v3, s[12:13] offset:96
	global_load_dwordx2 v[65:66], v3, s[12:13] offset:112
	v_mul_f32_e32 v84, v70, v68
	ds_read_b32 v75, v42 offset:3840
	v_fmac_f32_e32 v84, v56, v67
	ds_read2st64_b32 v[67:68], v42 offset0:11 offset1:12
	v_mul_f32_e32 v45, v59, v74
	v_mul_lo_u32 v59, v1, v36
	v_mul_f32_e32 v58, v58, v72
	v_fmac_f32_e32 v58, v81, v71
	s_waitcnt vmcnt(2) lgkmcnt(0)
	v_mul_f32_e32 v3, v68, v78
	v_fma_f32 v71, v5, v77, -v3
	v_mov_b32_e32 v56, 3
	v_mul_f32_e32 v5, v5, v78
	v_fmac_f32_e32 v5, v68, v77
	v_mul_lo_u32 v68, v1, v12
	v_sub_f32_e32 v5, v83, v5
	v_fmac_f32_e32 v45, v82, v73
	v_sub_f32_e32 v71, v76, v71
	v_lshlrev_b32_sdwa v70, v56, v68 dst_sel:DWORD dst_unused:UNUSED_PAD src0_sel:DWORD src1_sel:BYTE_1
	v_fma_f32 v74, v76, 2.0, -v71
	v_sub_f32_e32 v57, v48, v57
	v_sub_f32_e32 v58, v49, v58
	v_fma_f32 v49, v49, 2.0, -v58
	v_sub_f32_e32 v53, v47, v53
	v_fma_f32 v47, v47, 2.0, -v53
	v_fma_f32 v48, v48, 2.0, -v57
	v_sub_f32_e32 v81, v53, v58
	v_mul_lo_u32 v34, v1, v34
	s_waitcnt vmcnt(1)
	v_mul_f32_e32 v3, v55, v62
	v_mul_f32_e32 v43, v69, v62
	v_fma_f32 v42, v69, v61, -v3
	v_fmac_f32_e32 v43, v55, v61
	v_mul_f32_e32 v3, v67, v64
	v_mul_f32_e32 v55, v4, v64
	v_lshlrev_b32_sdwa v64, v56, v59 dst_sel:DWORD dst_unused:UNUSED_PAD src0_sel:DWORD src1_sel:BYTE_0
	v_fma_f32 v36, v4, v63, -v3
	v_lshlrev_b32_sdwa v59, v56, v59 dst_sel:DWORD dst_unused:UNUSED_PAD src0_sel:DWORD src1_sel:BYTE_1
	global_load_dwordx2 v[3:4], v64, s[0:1]
	global_load_dwordx2 v[61:62], v59, s[0:1] offset:2048
	s_waitcnt vmcnt(2)
	v_mul_f32_e32 v59, v75, v66
	v_fma_f32 v59, v60, v65, -v59
	v_mul_f32_e32 v60, v60, v66
	v_lshlrev_b32_sdwa v66, v56, v13 dst_sel:DWORD dst_unused:UNUSED_PAD src0_sel:DWORD src1_sel:BYTE_0
	v_fmac_f32_e32 v55, v67, v63
	v_lshlrev_b32_sdwa v67, v56, v13 dst_sel:DWORD dst_unused:UNUSED_PAD src0_sel:DWORD src1_sel:BYTE_1
	global_load_dwordx2 v[12:13], v66, s[0:1]
	global_load_dwordx2 v[63:64], v67, s[0:1] offset:2048
	v_lshlrev_b32_sdwa v69, v56, v68 dst_sel:DWORD dst_unused:UNUSED_PAD src0_sel:DWORD src1_sel:BYTE_0
	v_fmac_f32_e32 v60, v75, v65
	global_load_dwordx2 v[65:66], v69, s[0:1]
	global_load_dwordx2 v[67:68], v70, s[0:1] offset:2048
	v_fma_f32 v75, v83, 2.0, -v5
	v_sub_f32_e32 v83, v50, v52
	v_fma_f32 v85, v50, 2.0, -v83
	v_lshlrev_b32_sdwa v50, v56, v35 dst_sel:DWORD dst_unused:UNUSED_PAD src0_sel:DWORD src1_sel:BYTE_0
	v_lshlrev_b32_sdwa v35, v56, v35 dst_sel:DWORD dst_unused:UNUSED_PAD src0_sel:DWORD src1_sel:BYTE_1
	v_sub_f32_e32 v55, v39, v55
	v_sub_f32_e32 v60, v43, v60
	;; [unrolled: 1-line block ×3, first 2 shown]
	v_fma_f32 v39, v39, 2.0, -v55
	v_sub_f32_e32 v59, v42, v59
	v_fma_f32 v43, v43, 2.0, -v60
	v_fma_f32 v38, v38, 2.0, -v36
	;; [unrolled: 1-line block ×3, first 2 shown]
	v_sub_f32_e32 v60, v36, v60
	v_add_f32_e32 v59, v55, v59
	v_fma_f32 v55, v55, 2.0, -v59
	s_waitcnt vmcnt(4)
	v_mul_f32_e32 v69, v4, v62
	v_fma_f32 v72, v3, v61, -v69
	v_mul_f32_e32 v3, v3, v62
	v_fmac_f32_e32 v3, v4, v61
	v_lshlrev_b32_sdwa v4, v56, v11 dst_sel:DWORD dst_unused:UNUSED_PAD src0_sel:DWORD src1_sel:BYTE_0
	v_lshlrev_b32_sdwa v11, v56, v11 dst_sel:DWORD dst_unused:UNUSED_PAD src0_sel:DWORD src1_sel:BYTE_1
	global_load_dwordx2 v[61:62], v4, s[0:1]
	global_load_dwordx2 v[69:70], v11, s[0:1] offset:2048
	v_sub_f32_e32 v11, v79, v84
	v_sub_f32_e32 v4, v2, v80
	v_fma_f32 v73, v79, 2.0, -v11
	v_fma_f32 v2, v2, 2.0, -v4
	v_sub_f32_e32 v75, v73, v75
	v_sub_f32_e32 v74, v2, v74
	v_fma_f32 v73, v73, 2.0, -v75
	v_sub_f32_e32 v77, v4, v5
	v_fma_f32 v76, v2, 2.0, -v74
	v_fma_f32 v5, v4, 2.0, -v77
	v_mul_f32_e32 v2, v73, v3
	s_waitcnt vmcnt(4)
	v_mul_f32_e32 v4, v13, v64
	v_fma_f32 v2, v76, v72, -v2
	v_mul_f32_e32 v3, v76, v3
	v_fma_f32 v76, v12, v63, -v4
	v_mul_lo_u32 v4, v1, v10
	v_add_f32_e32 v78, v11, v71
	v_mul_f32_e32 v71, v12, v64
	v_fma_f32 v79, v11, 2.0, -v78
	v_lshlrev_b32_sdwa v64, v56, v4 dst_sel:DWORD dst_unused:UNUSED_PAD src0_sel:DWORD src1_sel:BYTE_0
	v_lshlrev_b32_sdwa v4, v56, v4 dst_sel:DWORD dst_unused:UNUSED_PAD src0_sel:DWORD src1_sel:BYTE_1
	v_fmac_f32_e32 v71, v13, v63
	global_load_dwordx2 v[10:11], v64, s[0:1]
	global_load_dwordx2 v[12:13], v4, s[0:1] offset:2048
	v_mul_lo_u32 v4, v1, v7
	s_waitcnt vmcnt(4)
	v_mul_f32_e32 v63, v66, v68
	v_mul_f32_e32 v7, v65, v68
	v_fma_f32 v80, v65, v67, -v63
	v_fmac_f32_e32 v7, v66, v67
	v_lshlrev_b32_sdwa v67, v56, v4 dst_sel:DWORD dst_unused:UNUSED_PAD src0_sel:DWORD src1_sel:BYTE_0
	v_lshlrev_b32_sdwa v4, v56, v4 dst_sel:DWORD dst_unused:UNUSED_PAD src0_sel:DWORD src1_sel:BYTE_1
	global_load_dwordx2 v[63:64], v67, s[0:1]
	global_load_dwordx2 v[65:66], v4, s[0:1] offset:2048
	v_fmac_f32_e32 v3, v73, v72
	v_mul_f32_e32 v4, v79, v71
	v_lshlrev_b32_sdwa v73, v56, v6 dst_sel:DWORD dst_unused:UNUSED_PAD src0_sel:DWORD src1_sel:BYTE_0
	v_lshlrev_b32_sdwa v6, v56, v6 dst_sel:DWORD dst_unused:UNUSED_PAD src0_sel:DWORD src1_sel:BYTE_1
	v_fma_f32 v4, v5, v76, -v4
	v_mul_f32_e32 v5, v5, v71
	global_load_dwordx2 v[67:68], v73, s[0:1]
	global_load_dwordx2 v[71:72], v6, s[0:1] offset:2048
	v_mul_f32_e32 v6, v75, v7
	v_fmac_f32_e32 v5, v79, v76
	v_fma_f32 v6, v74, v80, -v6
	v_mul_f32_e32 v7, v74, v7
	v_lshlrev_b32_sdwa v74, v56, v9 dst_sel:DWORD dst_unused:UNUSED_PAD src0_sel:DWORD src1_sel:BYTE_0
	v_lshlrev_b32_sdwa v9, v56, v9 dst_sel:DWORD dst_unused:UNUSED_PAD src0_sel:DWORD src1_sel:BYTE_1
	v_fmac_f32_e32 v7, v75, v80
	s_waitcnt vmcnt(6)
	v_mul_f32_e32 v73, v62, v70
	v_fma_f32 v79, v61, v69, -v73
	v_mul_f32_e32 v73, v61, v70
	v_fmac_f32_e32 v73, v62, v69
	global_load_dwordx2 v[61:62], v74, s[0:1]
	global_load_dwordx2 v[69:70], v9, s[0:1] offset:2048
	v_mul_lo_u32 v74, v1, v8
	v_mul_f32_e32 v8, v78, v73
	v_fma_f32 v8, v77, v79, -v8
	v_mul_f32_e32 v9, v77, v73
	v_lshlrev_b32_sdwa v77, v56, v74 dst_sel:DWORD dst_unused:UNUSED_PAD src0_sel:DWORD src1_sel:BYTE_0
	v_lshlrev_b32_sdwa v80, v56, v74 dst_sel:DWORD dst_unused:UNUSED_PAD src0_sel:DWORD src1_sel:BYTE_1
	global_load_dwordx2 v[73:74], v77, s[0:1]
	global_load_dwordx2 v[75:76], v80, s[0:1] offset:2048
	ds_read_b32 v37, v37
	v_sub_f32_e32 v77, v47, v48
	v_fma_f32 v47, v47, 2.0, -v77
	v_fma_f32 v48, v53, 2.0, -v81
	v_fmac_f32_e32 v9, v78, v79
	s_waitcnt lgkmcnt(0)
	v_sub_f32_e32 v54, v37, v54
	v_fma_f32 v37, v37, 2.0, -v54
	v_add_f32_e32 v82, v54, v57
	v_sub_f32_e32 v80, v37, v49
	v_fma_f32 v49, v54, 2.0, -v82
	v_sub_f32_e32 v54, v46, v51
	v_fma_f32 v84, v46, 2.0, -v54
	s_waitcnt vmcnt(8)
	v_mul_f32_e32 v46, v11, v13
	v_fma_f32 v46, v10, v12, -v46
	v_mul_f32_e32 v10, v10, v13
	v_fma_f32 v37, v37, 2.0, -v80
	v_fmac_f32_e32 v10, v11, v12
	v_mul_f32_e32 v11, v37, v10
	v_fma_f32 v12, v47, v46, -v11
	s_waitcnt vmcnt(6)
	v_mul_f32_e32 v11, v63, v66
	v_mul_f32_e32 v13, v47, v10
	;; [unrolled: 1-line block ×3, first 2 shown]
	v_fmac_f32_e32 v11, v64, v65
	v_fmac_f32_e32 v13, v37, v46
	v_fma_f32 v37, v63, v65, -v10
	v_mul_f32_e32 v10, v49, v11
	v_mul_f32_e32 v11, v48, v11
	v_fma_f32 v10, v48, v37, -v10
	v_fmac_f32_e32 v11, v49, v37
	global_load_dwordx2 v[46:47], v50, s[0:1]
	global_load_dwordx2 v[48:49], v35, s[0:1] offset:2048
	v_mul_lo_u32 v35, v1, v14
	s_waitcnt vmcnt(6)
	v_mul_f32_e32 v57, v67, v72
	v_mul_f32_e32 v37, v68, v72
	v_fmac_f32_e32 v57, v68, v71
	v_lshlrev_b32_sdwa v58, v56, v35 dst_sel:DWORD dst_unused:UNUSED_PAD src0_sel:DWORD src1_sel:BYTE_0
	v_lshlrev_b32_sdwa v35, v56, v35 dst_sel:DWORD dst_unused:UNUSED_PAD src0_sel:DWORD src1_sel:BYTE_1
	global_load_dwordx2 v[50:51], v58, s[0:1]
	global_load_dwordx2 v[52:53], v35, s[0:1] offset:2048
	v_mul_lo_u32 v35, v1, v15
	v_fma_f32 v37, v67, v71, -v37
	v_mul_f32_e32 v14, v80, v57
	v_mul_f32_e32 v15, v77, v57
	v_lshlrev_b32_sdwa v65, v56, v35 dst_sel:DWORD dst_unused:UNUSED_PAD src0_sel:DWORD src1_sel:BYTE_0
	v_fma_f32 v14, v77, v37, -v14
	v_lshlrev_b32_sdwa v35, v56, v35 dst_sel:DWORD dst_unused:UNUSED_PAD src0_sel:DWORD src1_sel:BYTE_1
	v_lshlrev_b32_sdwa v66, v56, v34 dst_sel:DWORD dst_unused:UNUSED_PAD src0_sel:DWORD src1_sel:BYTE_0
	v_lshlrev_b32_sdwa v67, v56, v34 dst_sel:DWORD dst_unused:UNUSED_PAD src0_sel:DWORD src1_sel:BYTE_1
	v_mul_lo_u32 v1, v1, v31
	v_fmac_f32_e32 v15, v80, v37
	v_lshlrev_b32_sdwa v37, v56, v32 dst_sel:DWORD dst_unused:UNUSED_PAD src0_sel:DWORD src1_sel:BYTE_0
	v_sub_f32_e32 v79, v41, v45
	v_sub_f32_e32 v80, v39, v43
	s_waitcnt vmcnt(6)
	v_mul_f32_e32 v57, v62, v70
	v_fma_f32 v77, v61, v69, -v57
	global_load_dwordx2 v[57:58], v65, s[0:1]
	global_load_dwordx2 v[63:64], v35, s[0:1] offset:2048
	v_mul_f32_e32 v70, v61, v70
	v_fmac_f32_e32 v70, v62, v69
	global_load_dwordx2 v[34:35], v66, s[0:1]
	global_load_dwordx2 v[61:62], v67, s[0:1] offset:2048
	v_lshlrev_b32_sdwa v69, v56, v33 dst_sel:DWORD dst_unused:UNUSED_PAD src0_sel:DWORD src1_sel:BYTE_0
	s_waitcnt vmcnt(8)
	v_mul_f32_e32 v65, v74, v76
	v_fma_f32 v78, v73, v75, -v65
	v_lshlrev_b32_sdwa v33, v56, v33 dst_sel:DWORD dst_unused:UNUSED_PAD src0_sel:DWORD src1_sel:BYTE_1
	global_load_dwordx2 v[65:66], v69, s[0:1]
	global_load_dwordx2 v[67:68], v33, s[0:1] offset:2048
	v_mul_f32_e32 v76, v73, v76
	v_fmac_f32_e32 v76, v74, v75
	v_sub_f32_e32 v75, v40, v44
	v_lshlrev_b32_sdwa v69, v56, v32 dst_sel:DWORD dst_unused:UNUSED_PAD src0_sel:DWORD src1_sel:BYTE_1
	global_load_dwordx2 v[32:33], v37, s[0:1]
	global_load_dwordx2 v[44:45], v69, s[0:1] offset:2048
	v_mul_f32_e32 v31, v82, v70
	v_fma_f32 v69, v81, v77, -v31
	v_lshlrev_b32_sdwa v31, v56, v1 dst_sel:DWORD dst_unused:UNUSED_PAD src0_sel:DWORD src1_sel:BYTE_0
	v_lshlrev_b32_sdwa v1, v56, v1 dst_sel:DWORD dst_unused:UNUSED_PAD src0_sel:DWORD src1_sel:BYTE_1
	global_load_dwordx2 v[71:72], v31, s[0:1]
	global_load_dwordx2 v[73:74], v1, s[0:1] offset:2048
	v_fma_f32 v31, v41, 2.0, -v79
	v_fma_f32 v1, v40, 2.0, -v75
	v_sub_f32_e32 v31, v85, v31
	v_sub_f32_e32 v1, v84, v1
	v_fma_f32 v40, v85, 2.0, -v31
	v_sub_f32_e32 v56, v54, v79
	v_add_f32_e32 v75, v83, v75
	v_fma_f32 v37, v84, 2.0, -v1
	v_fma_f32 v41, v54, 2.0, -v56
	;; [unrolled: 1-line block ×3, first 2 shown]
	v_sub_f32_e32 v79, v38, v42
	v_fma_f32 v83, v39, 2.0, -v80
	v_fma_f32 v84, v36, 2.0, -v60
	v_mul_f32_e32 v36, v40, v76
	v_mul_f32_e32 v70, v81, v70
	v_fma_f32 v81, v38, 2.0, -v79
	s_waitcnt vmcnt(12)
	v_mul_f32_e32 v39, v46, v49
	v_fma_f32 v36, v37, v78, -v36
	v_mul_f32_e32 v37, v37, v76
	v_mul_f32_e32 v38, v47, v49
	v_fmac_f32_e32 v39, v47, v48
	v_fmac_f32_e32 v37, v40, v78
	v_fma_f32 v40, v46, v48, -v38
	v_mul_f32_e32 v38, v54, v39
	v_fma_f32 v38, v41, v40, -v38
	v_mul_f32_e32 v39, v41, v39
	s_waitcnt vmcnt(10)
	v_mul_f32_e32 v41, v50, v53
	v_fmac_f32_e32 v39, v54, v40
	v_mul_f32_e32 v40, v51, v53
	v_fmac_f32_e32 v41, v51, v52
	v_fma_f32 v42, v50, v52, -v40
	v_mul_f32_e32 v40, v31, v41
	v_mul_f32_e32 v41, v1, v41
	v_fmac_f32_e32 v41, v31, v42
	v_fma_f32 v40, v1, v42, -v40
	v_fmac_f32_e32 v70, v82, v77
	s_waitcnt vmcnt(8)
	v_mul_f32_e32 v31, v57, v64
	v_mul_f32_e32 v1, v58, v64
	v_fmac_f32_e32 v31, v58, v63
	v_fma_f32 v1, v57, v63, -v1
	v_mul_f32_e32 v42, v75, v31
	v_mul_f32_e32 v43, v56, v31
	s_waitcnt vmcnt(6)
	v_mul_f32_e32 v31, v34, v62
	v_fma_f32 v42, v56, v1, -v42
	v_fmac_f32_e32 v43, v75, v1
	v_mul_f32_e32 v1, v35, v62
	v_fmac_f32_e32 v31, v35, v61
	v_fma_f32 v1, v34, v61, -v1
	v_mul_f32_e32 v34, v83, v31
	v_mul_f32_e32 v35, v81, v31
	s_waitcnt vmcnt(4)
	v_mul_f32_e32 v31, v65, v68
	v_fma_f32 v34, v81, v1, -v34
	v_fmac_f32_e32 v35, v83, v1
	v_mul_f32_e32 v1, v66, v68
	v_fmac_f32_e32 v31, v66, v67
	v_fma_f32 v1, v65, v67, -v1
	v_mul_f32_e32 v46, v55, v31
	v_mul_f32_e32 v47, v84, v31
	v_fma_f32 v46, v84, v1, -v46
	v_fmac_f32_e32 v47, v55, v1
	s_waitcnt vmcnt(2)
	v_mul_f32_e32 v1, v33, v45
	v_fma_f32 v1, v32, v44, -v1
	v_mul_f32_e32 v32, v32, v45
	v_fmac_f32_e32 v32, v33, v44
	v_mul_f32_e32 v31, v80, v32
	v_mul_f32_e32 v32, v79, v32
	s_waitcnt vmcnt(0)
	v_mul_f32_e32 v33, v71, v74
	v_fma_f32 v31, v79, v1, -v31
	v_fmac_f32_e32 v32, v80, v1
	v_mul_f32_e32 v1, v72, v74
	v_fmac_f32_e32 v33, v72, v73
	v_fma_f32 v1, v71, v73, -v1
	v_mul_f32_e32 v44, v59, v33
	v_mul_f32_e32 v45, v60, v33
	v_fma_f32 v44, v60, v1, -v44
	v_fmac_f32_e32 v45, v59, v1
	buffer_store_dwordx2 v[2:3], v21, s[8:11], s2 offen
	buffer_store_dwordx2 v[4:5], v28, s[8:11], s2 offen
	;; [unrolled: 1-line block ×16, first 2 shown]
	s_endpgm
	.section	.rodata,"a",@progbits
	.p2align	6, 0x0
	.amdhsa_kernel fft_rtc_fwd_len64_factors_4_4_4_wgs_64_tpt_4_halfLds_dim2_sp_ip_CI_sbcc_twdbase8_2step_dirReg_intrinsicReadWrite
		.amdhsa_group_segment_fixed_size 0
		.amdhsa_private_segment_fixed_size 0
		.amdhsa_kernarg_size 88
		.amdhsa_user_sgpr_count 6
		.amdhsa_user_sgpr_private_segment_buffer 1
		.amdhsa_user_sgpr_dispatch_ptr 0
		.amdhsa_user_sgpr_queue_ptr 0
		.amdhsa_user_sgpr_kernarg_segment_ptr 1
		.amdhsa_user_sgpr_dispatch_id 0
		.amdhsa_user_sgpr_flat_scratch_init 0
		.amdhsa_user_sgpr_private_segment_size 0
		.amdhsa_uses_dynamic_stack 0
		.amdhsa_system_sgpr_private_segment_wavefront_offset 0
		.amdhsa_system_sgpr_workgroup_id_x 1
		.amdhsa_system_sgpr_workgroup_id_y 0
		.amdhsa_system_sgpr_workgroup_id_z 0
		.amdhsa_system_sgpr_workgroup_info 0
		.amdhsa_system_vgpr_workitem_id 0
		.amdhsa_next_free_vgpr 86
		.amdhsa_next_free_sgpr 24
		.amdhsa_reserve_vcc 1
		.amdhsa_reserve_flat_scratch 0
		.amdhsa_float_round_mode_32 0
		.amdhsa_float_round_mode_16_64 0
		.amdhsa_float_denorm_mode_32 3
		.amdhsa_float_denorm_mode_16_64 3
		.amdhsa_dx10_clamp 1
		.amdhsa_ieee_mode 1
		.amdhsa_fp16_overflow 0
		.amdhsa_exception_fp_ieee_invalid_op 0
		.amdhsa_exception_fp_denorm_src 0
		.amdhsa_exception_fp_ieee_div_zero 0
		.amdhsa_exception_fp_ieee_overflow 0
		.amdhsa_exception_fp_ieee_underflow 0
		.amdhsa_exception_fp_ieee_inexact 0
		.amdhsa_exception_int_div_zero 0
	.end_amdhsa_kernel
	.text
.Lfunc_end0:
	.size	fft_rtc_fwd_len64_factors_4_4_4_wgs_64_tpt_4_halfLds_dim2_sp_ip_CI_sbcc_twdbase8_2step_dirReg_intrinsicReadWrite, .Lfunc_end0-fft_rtc_fwd_len64_factors_4_4_4_wgs_64_tpt_4_halfLds_dim2_sp_ip_CI_sbcc_twdbase8_2step_dirReg_intrinsicReadWrite
                                        ; -- End function
	.section	.AMDGPU.csdata,"",@progbits
; Kernel info:
; codeLenInByte = 4892
; NumSgprs: 28
; NumVgprs: 86
; ScratchSize: 0
; MemoryBound: 0
; FloatMode: 240
; IeeeMode: 1
; LDSByteSize: 0 bytes/workgroup (compile time only)
; SGPRBlocks: 3
; VGPRBlocks: 21
; NumSGPRsForWavesPerEU: 28
; NumVGPRsForWavesPerEU: 86
; Occupancy: 2
; WaveLimiterHint : 0
; COMPUTE_PGM_RSRC2:SCRATCH_EN: 0
; COMPUTE_PGM_RSRC2:USER_SGPR: 6
; COMPUTE_PGM_RSRC2:TRAP_HANDLER: 0
; COMPUTE_PGM_RSRC2:TGID_X_EN: 1
; COMPUTE_PGM_RSRC2:TGID_Y_EN: 0
; COMPUTE_PGM_RSRC2:TGID_Z_EN: 0
; COMPUTE_PGM_RSRC2:TIDIG_COMP_CNT: 0
	.type	__hip_cuid_57a4695e16203ddd,@object ; @__hip_cuid_57a4695e16203ddd
	.section	.bss,"aw",@nobits
	.globl	__hip_cuid_57a4695e16203ddd
__hip_cuid_57a4695e16203ddd:
	.byte	0                               ; 0x0
	.size	__hip_cuid_57a4695e16203ddd, 1

	.ident	"AMD clang version 19.0.0git (https://github.com/RadeonOpenCompute/llvm-project roc-6.4.0 25133 c7fe45cf4b819c5991fe208aaa96edf142730f1d)"
	.section	".note.GNU-stack","",@progbits
	.addrsig
	.addrsig_sym __hip_cuid_57a4695e16203ddd
	.amdgpu_metadata
---
amdhsa.kernels:
  - .args:
      - .actual_access:  read_only
        .address_space:  global
        .offset:         0
        .size:           8
        .value_kind:     global_buffer
      - .address_space:  global
        .offset:         8
        .size:           8
        .value_kind:     global_buffer
      - .actual_access:  read_only
        .address_space:  global
        .offset:         16
        .size:           8
        .value_kind:     global_buffer
      - .actual_access:  read_only
        .address_space:  global
        .offset:         24
        .size:           8
        .value_kind:     global_buffer
      - .offset:         32
        .size:           8
        .value_kind:     by_value
      - .actual_access:  read_only
        .address_space:  global
        .offset:         40
        .size:           8
        .value_kind:     global_buffer
      - .actual_access:  read_only
        .address_space:  global
        .offset:         48
        .size:           8
        .value_kind:     global_buffer
      - .offset:         56
        .size:           4
        .value_kind:     by_value
      - .actual_access:  read_only
        .address_space:  global
        .offset:         64
        .size:           8
        .value_kind:     global_buffer
      - .actual_access:  read_only
        .address_space:  global
        .offset:         72
        .size:           8
        .value_kind:     global_buffer
      - .address_space:  global
        .offset:         80
        .size:           8
        .value_kind:     global_buffer
    .group_segment_fixed_size: 0
    .kernarg_segment_align: 8
    .kernarg_segment_size: 88
    .language:       OpenCL C
    .language_version:
      - 2
      - 0
    .max_flat_workgroup_size: 64
    .name:           fft_rtc_fwd_len64_factors_4_4_4_wgs_64_tpt_4_halfLds_dim2_sp_ip_CI_sbcc_twdbase8_2step_dirReg_intrinsicReadWrite
    .private_segment_fixed_size: 0
    .sgpr_count:     28
    .sgpr_spill_count: 0
    .symbol:         fft_rtc_fwd_len64_factors_4_4_4_wgs_64_tpt_4_halfLds_dim2_sp_ip_CI_sbcc_twdbase8_2step_dirReg_intrinsicReadWrite.kd
    .uniform_work_group_size: 1
    .uses_dynamic_stack: false
    .vgpr_count:     86
    .vgpr_spill_count: 0
    .wavefront_size: 64
amdhsa.target:   amdgcn-amd-amdhsa--gfx906
amdhsa.version:
  - 1
  - 2
...

	.end_amdgpu_metadata
